;; amdgpu-corpus repo=ROCm/rocFFT kind=compiled arch=gfx1100 opt=O3
	.text
	.amdgcn_target "amdgcn-amd-amdhsa--gfx1100"
	.amdhsa_code_object_version 6
	.protected	fft_rtc_back_len525_factors_7_3_5_5_wgs_105_tpt_105_sp_ip_CI_unitstride_sbrr_dirReg ; -- Begin function fft_rtc_back_len525_factors_7_3_5_5_wgs_105_tpt_105_sp_ip_CI_unitstride_sbrr_dirReg
	.globl	fft_rtc_back_len525_factors_7_3_5_5_wgs_105_tpt_105_sp_ip_CI_unitstride_sbrr_dirReg
	.p2align	8
	.type	fft_rtc_back_len525_factors_7_3_5_5_wgs_105_tpt_105_sp_ip_CI_unitstride_sbrr_dirReg,@function
fft_rtc_back_len525_factors_7_3_5_5_wgs_105_tpt_105_sp_ip_CI_unitstride_sbrr_dirReg: ; @fft_rtc_back_len525_factors_7_3_5_5_wgs_105_tpt_105_sp_ip_CI_unitstride_sbrr_dirReg
; %bb.0:
	s_clause 0x2
	s_load_b128 s[4:7], s[0:1], 0x0
	s_load_b64 s[8:9], s[0:1], 0x50
	s_load_b64 s[10:11], s[0:1], 0x18
	v_mul_u32_u24_e32 v1, 0x271, v0
	v_mov_b32_e32 v3, 0
	v_mov_b32_e32 v4, 0
	s_delay_alu instid0(VALU_DEP_3) | instskip(SKIP_1) | instid1(VALU_DEP_1)
	v_lshrrev_b32_e32 v2, 16, v1
	v_mov_b32_e32 v1, 0
	v_dual_mov_b32 v6, v1 :: v_dual_add_nc_u32 v5, s15, v2
	s_waitcnt lgkmcnt(0)
	v_cmp_lt_u64_e64 s2, s[6:7], 2
	s_delay_alu instid0(VALU_DEP_1)
	s_and_b32 vcc_lo, exec_lo, s2
	s_cbranch_vccnz .LBB0_8
; %bb.1:
	s_load_b64 s[2:3], s[0:1], 0x10
	v_mov_b32_e32 v3, 0
	s_add_u32 s12, s10, 8
	v_mov_b32_e32 v4, 0
	s_addc_u32 s13, s11, 0
	s_mov_b64 s[16:17], 1
	s_waitcnt lgkmcnt(0)
	s_add_u32 s14, s2, 8
	s_addc_u32 s15, s3, 0
.LBB0_2:                                ; =>This Inner Loop Header: Depth=1
	s_load_b64 s[18:19], s[14:15], 0x0
                                        ; implicit-def: $vgpr7_vgpr8
	s_mov_b32 s2, exec_lo
	s_waitcnt lgkmcnt(0)
	v_or_b32_e32 v2, s19, v6
	s_delay_alu instid0(VALU_DEP_1)
	v_cmpx_ne_u64_e32 0, v[1:2]
	s_xor_b32 s3, exec_lo, s2
	s_cbranch_execz .LBB0_4
; %bb.3:                                ;   in Loop: Header=BB0_2 Depth=1
	v_cvt_f32_u32_e32 v2, s18
	v_cvt_f32_u32_e32 v7, s19
	s_sub_u32 s2, 0, s18
	s_subb_u32 s20, 0, s19
	s_delay_alu instid0(VALU_DEP_1) | instskip(NEXT) | instid1(VALU_DEP_1)
	v_fmac_f32_e32 v2, 0x4f800000, v7
	v_rcp_f32_e32 v2, v2
	s_waitcnt_depctr 0xfff
	v_mul_f32_e32 v2, 0x5f7ffffc, v2
	s_delay_alu instid0(VALU_DEP_1) | instskip(NEXT) | instid1(VALU_DEP_1)
	v_mul_f32_e32 v7, 0x2f800000, v2
	v_trunc_f32_e32 v7, v7
	s_delay_alu instid0(VALU_DEP_1) | instskip(SKIP_1) | instid1(VALU_DEP_2)
	v_fmac_f32_e32 v2, 0xcf800000, v7
	v_cvt_u32_f32_e32 v7, v7
	v_cvt_u32_f32_e32 v2, v2
	s_delay_alu instid0(VALU_DEP_2) | instskip(NEXT) | instid1(VALU_DEP_2)
	v_mul_lo_u32 v8, s2, v7
	v_mul_hi_u32 v9, s2, v2
	v_mul_lo_u32 v10, s20, v2
	s_delay_alu instid0(VALU_DEP_2) | instskip(SKIP_1) | instid1(VALU_DEP_2)
	v_add_nc_u32_e32 v8, v9, v8
	v_mul_lo_u32 v9, s2, v2
	v_add_nc_u32_e32 v8, v8, v10
	s_delay_alu instid0(VALU_DEP_2) | instskip(NEXT) | instid1(VALU_DEP_2)
	v_mul_hi_u32 v10, v2, v9
	v_mul_lo_u32 v11, v2, v8
	v_mul_hi_u32 v12, v2, v8
	v_mul_hi_u32 v13, v7, v9
	v_mul_lo_u32 v9, v7, v9
	v_mul_hi_u32 v14, v7, v8
	v_mul_lo_u32 v8, v7, v8
	v_add_co_u32 v10, vcc_lo, v10, v11
	v_add_co_ci_u32_e32 v11, vcc_lo, 0, v12, vcc_lo
	s_delay_alu instid0(VALU_DEP_2) | instskip(NEXT) | instid1(VALU_DEP_2)
	v_add_co_u32 v9, vcc_lo, v10, v9
	v_add_co_ci_u32_e32 v9, vcc_lo, v11, v13, vcc_lo
	v_add_co_ci_u32_e32 v10, vcc_lo, 0, v14, vcc_lo
	s_delay_alu instid0(VALU_DEP_2) | instskip(NEXT) | instid1(VALU_DEP_2)
	v_add_co_u32 v8, vcc_lo, v9, v8
	v_add_co_ci_u32_e32 v9, vcc_lo, 0, v10, vcc_lo
	s_delay_alu instid0(VALU_DEP_2) | instskip(NEXT) | instid1(VALU_DEP_2)
	v_add_co_u32 v2, vcc_lo, v2, v8
	v_add_co_ci_u32_e32 v7, vcc_lo, v7, v9, vcc_lo
	s_delay_alu instid0(VALU_DEP_2) | instskip(SKIP_1) | instid1(VALU_DEP_3)
	v_mul_hi_u32 v8, s2, v2
	v_mul_lo_u32 v10, s20, v2
	v_mul_lo_u32 v9, s2, v7
	s_delay_alu instid0(VALU_DEP_1) | instskip(SKIP_1) | instid1(VALU_DEP_2)
	v_add_nc_u32_e32 v8, v8, v9
	v_mul_lo_u32 v9, s2, v2
	v_add_nc_u32_e32 v8, v8, v10
	s_delay_alu instid0(VALU_DEP_2) | instskip(NEXT) | instid1(VALU_DEP_2)
	v_mul_hi_u32 v10, v2, v9
	v_mul_lo_u32 v11, v2, v8
	v_mul_hi_u32 v12, v2, v8
	v_mul_hi_u32 v13, v7, v9
	v_mul_lo_u32 v9, v7, v9
	v_mul_hi_u32 v14, v7, v8
	v_mul_lo_u32 v8, v7, v8
	v_add_co_u32 v10, vcc_lo, v10, v11
	v_add_co_ci_u32_e32 v11, vcc_lo, 0, v12, vcc_lo
	s_delay_alu instid0(VALU_DEP_2) | instskip(NEXT) | instid1(VALU_DEP_2)
	v_add_co_u32 v9, vcc_lo, v10, v9
	v_add_co_ci_u32_e32 v9, vcc_lo, v11, v13, vcc_lo
	v_add_co_ci_u32_e32 v10, vcc_lo, 0, v14, vcc_lo
	s_delay_alu instid0(VALU_DEP_2) | instskip(NEXT) | instid1(VALU_DEP_2)
	v_add_co_u32 v8, vcc_lo, v9, v8
	v_add_co_ci_u32_e32 v9, vcc_lo, 0, v10, vcc_lo
	s_delay_alu instid0(VALU_DEP_2) | instskip(NEXT) | instid1(VALU_DEP_2)
	v_add_co_u32 v2, vcc_lo, v2, v8
	v_add_co_ci_u32_e32 v13, vcc_lo, v7, v9, vcc_lo
	s_delay_alu instid0(VALU_DEP_2) | instskip(SKIP_1) | instid1(VALU_DEP_3)
	v_mul_hi_u32 v14, v5, v2
	v_mad_u64_u32 v[9:10], null, v6, v2, 0
	v_mad_u64_u32 v[7:8], null, v5, v13, 0
	;; [unrolled: 1-line block ×3, first 2 shown]
	s_delay_alu instid0(VALU_DEP_2) | instskip(NEXT) | instid1(VALU_DEP_3)
	v_add_co_u32 v2, vcc_lo, v14, v7
	v_add_co_ci_u32_e32 v7, vcc_lo, 0, v8, vcc_lo
	s_delay_alu instid0(VALU_DEP_2) | instskip(NEXT) | instid1(VALU_DEP_2)
	v_add_co_u32 v2, vcc_lo, v2, v9
	v_add_co_ci_u32_e32 v2, vcc_lo, v7, v10, vcc_lo
	v_add_co_ci_u32_e32 v7, vcc_lo, 0, v12, vcc_lo
	s_delay_alu instid0(VALU_DEP_2) | instskip(NEXT) | instid1(VALU_DEP_2)
	v_add_co_u32 v2, vcc_lo, v2, v11
	v_add_co_ci_u32_e32 v9, vcc_lo, 0, v7, vcc_lo
	s_delay_alu instid0(VALU_DEP_2) | instskip(SKIP_1) | instid1(VALU_DEP_3)
	v_mul_lo_u32 v10, s19, v2
	v_mad_u64_u32 v[7:8], null, s18, v2, 0
	v_mul_lo_u32 v11, s18, v9
	s_delay_alu instid0(VALU_DEP_2) | instskip(NEXT) | instid1(VALU_DEP_2)
	v_sub_co_u32 v7, vcc_lo, v5, v7
	v_add3_u32 v8, v8, v11, v10
	s_delay_alu instid0(VALU_DEP_1) | instskip(NEXT) | instid1(VALU_DEP_1)
	v_sub_nc_u32_e32 v10, v6, v8
	v_subrev_co_ci_u32_e64 v10, s2, s19, v10, vcc_lo
	v_add_co_u32 v11, s2, v2, 2
	s_delay_alu instid0(VALU_DEP_1) | instskip(SKIP_3) | instid1(VALU_DEP_3)
	v_add_co_ci_u32_e64 v12, s2, 0, v9, s2
	v_sub_co_u32 v13, s2, v7, s18
	v_sub_co_ci_u32_e32 v8, vcc_lo, v6, v8, vcc_lo
	v_subrev_co_ci_u32_e64 v10, s2, 0, v10, s2
	v_cmp_le_u32_e32 vcc_lo, s18, v13
	s_delay_alu instid0(VALU_DEP_3) | instskip(SKIP_1) | instid1(VALU_DEP_4)
	v_cmp_eq_u32_e64 s2, s19, v8
	v_cndmask_b32_e64 v13, 0, -1, vcc_lo
	v_cmp_le_u32_e32 vcc_lo, s19, v10
	v_cndmask_b32_e64 v14, 0, -1, vcc_lo
	v_cmp_le_u32_e32 vcc_lo, s18, v7
	;; [unrolled: 2-line block ×3, first 2 shown]
	v_cndmask_b32_e64 v15, 0, -1, vcc_lo
	v_cmp_eq_u32_e32 vcc_lo, s19, v10
	s_delay_alu instid0(VALU_DEP_2) | instskip(SKIP_3) | instid1(VALU_DEP_3)
	v_cndmask_b32_e64 v7, v15, v7, s2
	v_cndmask_b32_e32 v10, v14, v13, vcc_lo
	v_add_co_u32 v13, vcc_lo, v2, 1
	v_add_co_ci_u32_e32 v14, vcc_lo, 0, v9, vcc_lo
	v_cmp_ne_u32_e32 vcc_lo, 0, v10
	s_delay_alu instid0(VALU_DEP_2) | instskip(NEXT) | instid1(VALU_DEP_4)
	v_cndmask_b32_e32 v8, v14, v12, vcc_lo
	v_cndmask_b32_e32 v10, v13, v11, vcc_lo
	v_cmp_ne_u32_e32 vcc_lo, 0, v7
	s_delay_alu instid0(VALU_DEP_2)
	v_dual_cndmask_b32 v7, v2, v10 :: v_dual_cndmask_b32 v8, v9, v8
.LBB0_4:                                ;   in Loop: Header=BB0_2 Depth=1
	s_and_not1_saveexec_b32 s2, s3
	s_cbranch_execz .LBB0_6
; %bb.5:                                ;   in Loop: Header=BB0_2 Depth=1
	v_cvt_f32_u32_e32 v2, s18
	s_sub_i32 s3, 0, s18
	s_delay_alu instid0(VALU_DEP_1) | instskip(SKIP_2) | instid1(VALU_DEP_1)
	v_rcp_iflag_f32_e32 v2, v2
	s_waitcnt_depctr 0xfff
	v_mul_f32_e32 v2, 0x4f7ffffe, v2
	v_cvt_u32_f32_e32 v2, v2
	s_delay_alu instid0(VALU_DEP_1) | instskip(NEXT) | instid1(VALU_DEP_1)
	v_mul_lo_u32 v7, s3, v2
	v_mul_hi_u32 v7, v2, v7
	s_delay_alu instid0(VALU_DEP_1) | instskip(NEXT) | instid1(VALU_DEP_1)
	v_add_nc_u32_e32 v2, v2, v7
	v_mul_hi_u32 v2, v5, v2
	s_delay_alu instid0(VALU_DEP_1) | instskip(SKIP_1) | instid1(VALU_DEP_2)
	v_mul_lo_u32 v7, v2, s18
	v_add_nc_u32_e32 v8, 1, v2
	v_sub_nc_u32_e32 v7, v5, v7
	s_delay_alu instid0(VALU_DEP_1) | instskip(SKIP_1) | instid1(VALU_DEP_2)
	v_subrev_nc_u32_e32 v9, s18, v7
	v_cmp_le_u32_e32 vcc_lo, s18, v7
	v_dual_cndmask_b32 v7, v7, v9 :: v_dual_cndmask_b32 v2, v2, v8
	s_delay_alu instid0(VALU_DEP_1) | instskip(NEXT) | instid1(VALU_DEP_2)
	v_cmp_le_u32_e32 vcc_lo, s18, v7
	v_add_nc_u32_e32 v8, 1, v2
	s_delay_alu instid0(VALU_DEP_1)
	v_dual_cndmask_b32 v7, v2, v8 :: v_dual_mov_b32 v8, v1
.LBB0_6:                                ;   in Loop: Header=BB0_2 Depth=1
	s_or_b32 exec_lo, exec_lo, s2
	s_load_b64 s[2:3], s[12:13], 0x0
	s_delay_alu instid0(VALU_DEP_1) | instskip(NEXT) | instid1(VALU_DEP_2)
	v_mul_lo_u32 v2, v8, s18
	v_mul_lo_u32 v11, v7, s19
	v_mad_u64_u32 v[9:10], null, v7, s18, 0
	s_add_u32 s16, s16, 1
	s_addc_u32 s17, s17, 0
	s_add_u32 s12, s12, 8
	s_addc_u32 s13, s13, 0
	;; [unrolled: 2-line block ×3, first 2 shown]
	s_delay_alu instid0(VALU_DEP_1) | instskip(SKIP_1) | instid1(VALU_DEP_2)
	v_add3_u32 v2, v10, v11, v2
	v_sub_co_u32 v9, vcc_lo, v5, v9
	v_sub_co_ci_u32_e32 v2, vcc_lo, v6, v2, vcc_lo
	s_waitcnt lgkmcnt(0)
	s_delay_alu instid0(VALU_DEP_2) | instskip(NEXT) | instid1(VALU_DEP_2)
	v_mul_lo_u32 v10, s3, v9
	v_mul_lo_u32 v2, s2, v2
	v_mad_u64_u32 v[5:6], null, s2, v9, v[3:4]
	v_cmp_ge_u64_e64 s2, s[16:17], s[6:7]
	s_delay_alu instid0(VALU_DEP_1) | instskip(NEXT) | instid1(VALU_DEP_2)
	s_and_b32 vcc_lo, exec_lo, s2
	v_add3_u32 v4, v10, v6, v2
	s_delay_alu instid0(VALU_DEP_3)
	v_mov_b32_e32 v3, v5
	s_cbranch_vccnz .LBB0_9
; %bb.7:                                ;   in Loop: Header=BB0_2 Depth=1
	v_dual_mov_b32 v5, v7 :: v_dual_mov_b32 v6, v8
	s_branch .LBB0_2
.LBB0_8:
	v_dual_mov_b32 v8, v6 :: v_dual_mov_b32 v7, v5
.LBB0_9:
	s_lshl_b64 s[2:3], s[6:7], 3
	v_mul_hi_u32 v5, 0x2702703, v0
	s_add_u32 s2, s10, s2
	s_addc_u32 s3, s11, s3
	s_load_b64 s[2:3], s[2:3], 0x0
	s_load_b64 s[0:1], s[0:1], 0x20
	s_waitcnt lgkmcnt(0)
	v_mul_lo_u32 v6, s2, v8
	v_mul_lo_u32 v9, s3, v7
	v_mad_u64_u32 v[1:2], null, s2, v7, v[3:4]
	v_mul_u32_u24_e32 v3, 0x69, v5
	v_cmp_gt_u64_e32 vcc_lo, s[0:1], v[7:8]
	s_delay_alu instid0(VALU_DEP_2) | instskip(NEXT) | instid1(VALU_DEP_4)
	v_sub_nc_u32_e32 v4, v0, v3
	v_add3_u32 v2, v9, v2, v6
	s_delay_alu instid0(VALU_DEP_2) | instskip(NEXT) | instid1(VALU_DEP_2)
	v_lshl_add_u32 v16, v4, 3, 0
	v_lshlrev_b64 v[6:7], 3, v[1:2]
	s_and_saveexec_b32 s1, vcc_lo
	s_cbranch_execz .LBB0_11
; %bb.10:
	v_mov_b32_e32 v5, 0
	s_delay_alu instid0(VALU_DEP_2) | instskip(NEXT) | instid1(VALU_DEP_1)
	v_add_co_u32 v2, s0, s8, v6
	v_add_co_ci_u32_e64 v3, s0, s9, v7, s0
	s_delay_alu instid0(VALU_DEP_3) | instskip(SKIP_1) | instid1(VALU_DEP_2)
	v_lshlrev_b64 v[0:1], 3, v[4:5]
	v_add_nc_u32_e32 v5, 0x400, v16
	v_add_co_u32 v0, s0, v2, v0
	s_delay_alu instid0(VALU_DEP_1)
	v_add_co_ci_u32_e64 v1, s0, v3, v1, s0
	s_clause 0x4
	global_load_b64 v[2:3], v[0:1], off
	global_load_b64 v[8:9], v[0:1], off offset:840
	global_load_b64 v[10:11], v[0:1], off offset:1680
	;; [unrolled: 1-line block ×4, first 2 shown]
	s_waitcnt vmcnt(3)
	ds_store_2addr_b64 v16, v[2:3], v[8:9] offset1:105
	s_waitcnt vmcnt(1)
	ds_store_2addr_b64 v5, v[10:11], v[12:13] offset0:82 offset1:187
	s_waitcnt vmcnt(0)
	ds_store_b64 v16, v[0:1] offset:3360
.LBB0_11:
	s_or_b32 exec_lo, exec_lo, s1
	s_waitcnt lgkmcnt(0)
	s_barrier
	buffer_gl0_inv
	ds_load_2addr_b64 v[0:3], v16 offset1:75
	v_add_nc_u32_e32 v5, 0x800, v16
	ds_load_b64 v[17:18], v16 offset:3600
	ds_load_2addr_b64 v[8:11], v16 offset0:150 offset1:225
	ds_load_2addr_b64 v[12:15], v5 offset0:44 offset1:119
	s_mov_b32 s1, exec_lo
	s_waitcnt lgkmcnt(0)
	s_barrier
	buffer_gl0_inv
	v_add_f32_e32 v5, v2, v17
	v_add_f32_e32 v19, v3, v18
	v_dual_sub_f32 v17, v2, v17 :: v_dual_sub_f32 v18, v3, v18
	v_add_f32_e32 v2, v8, v14
	v_dual_sub_f32 v8, v8, v14 :: v_dual_add_f32 v3, v9, v15
	v_dual_sub_f32 v9, v9, v15 :: v_dual_add_f32 v14, v10, v12
	v_sub_f32_e32 v10, v12, v10
	s_delay_alu instid0(VALU_DEP_4) | instskip(SKIP_2) | instid1(VALU_DEP_4)
	v_add_f32_e32 v12, v2, v5
	v_add_f32_e32 v15, v11, v13
	v_dual_sub_f32 v11, v13, v11 :: v_dual_sub_f32 v22, v2, v5
	v_add_f32_e32 v20, v10, v8
	v_sub_f32_e32 v27, v10, v8
	v_add_f32_e32 v13, v3, v19
	s_delay_alu instid0(VALU_DEP_4)
	v_sub_f32_e32 v28, v11, v9
	v_dual_sub_f32 v26, v3, v19 :: v_dual_sub_f32 v5, v5, v14
	v_dual_sub_f32 v19, v19, v15 :: v_dual_sub_f32 v8, v8, v17
	;; [unrolled: 1-line block ×3, first 2 shown]
	v_dual_add_f32 v21, v11, v9 :: v_dual_sub_f32 v2, v17, v10
	v_dual_add_f32 v10, v14, v12 :: v_dual_sub_f32 v9, v9, v18
	s_delay_alu instid0(VALU_DEP_3) | instskip(SKIP_1) | instid1(VALU_DEP_4)
	v_dual_mul_f32 v24, 0x3d64c772, v24 :: v_dual_add_f32 v25, v20, v17
	v_mul_f32_e32 v17, 0x3f08b237, v28
	v_dual_sub_f32 v3, v18, v11 :: v_dual_add_f32 v20, v21, v18
	s_delay_alu instid0(VALU_DEP_4) | instskip(NEXT) | instid1(VALU_DEP_3)
	v_dual_add_f32 v11, v15, v13 :: v_dual_add_f32 v0, v0, v10
	v_fma_f32 v29, 0xbf5ff5aa, v9, -v17
	v_mul_f32_e32 v18, 0x3f08b237, v27
	s_delay_alu instid0(VALU_DEP_3) | instskip(NEXT) | instid1(VALU_DEP_3)
	v_dual_mul_f32 v12, 0xbf5ff5aa, v8 :: v_dual_add_f32 v1, v1, v11
	v_fmac_f32_e32 v29, 0xbee1c552, v20
	v_mul_f32_e32 v15, 0x3d64c772, v23
	v_mul_f32_e32 v21, 0x3f4a47b2, v19
	v_fmamk_f32 v19, v10, 0xbf955555, v0
	v_fmamk_f32 v23, v11, 0xbf955555, v1
	v_fma_f32 v11, 0x3f3bfb3b, v26, -v24
	v_fma_f32 v10, 0x3f3bfb3b, v22, -v15
	v_mul_f32_e32 v5, 0x3f4a47b2, v5
	v_fma_f32 v28, 0xbf5ff5aa, v8, -v18
	s_delay_alu instid0(VALU_DEP_4) | instskip(NEXT) | instid1(VALU_DEP_4)
	v_add_f32_e32 v11, v11, v23
	v_add_f32_e32 v10, v10, v19
	s_delay_alu instid0(VALU_DEP_4) | instskip(NEXT) | instid1(VALU_DEP_4)
	v_fma_f32 v22, 0xbf3bfb3b, v22, -v5
	v_fmac_f32_e32 v28, 0xbee1c552, v25
	s_delay_alu instid0(VALU_DEP_3) | instskip(NEXT) | instid1(VALU_DEP_3)
	v_sub_f32_e32 v8, v10, v29
	v_dual_add_f32 v22, v22, v19 :: v_dual_mul_f32 v13, 0xbf5ff5aa, v9
	v_fma_f32 v27, 0xbf3bfb3b, v26, -v21
	v_fma_f32 v26, 0x3eae86e6, v2, -v12
	v_add_f32_e32 v9, v28, v11
	s_delay_alu instid0(VALU_DEP_4) | instskip(NEXT) | instid1(VALU_DEP_3)
	v_fma_f32 v14, 0x3eae86e6, v3, -v13
	v_dual_add_f32 v27, v27, v23 :: v_dual_fmac_f32 v26, 0xbee1c552, v25
	v_dual_add_f32 v12, v29, v10 :: v_dual_sub_f32 v13, v11, v28
	s_delay_alu instid0(VALU_DEP_2) | instskip(NEXT) | instid1(VALU_DEP_1)
	v_dual_fmac_f32 v14, 0xbee1c552, v20 :: v_dual_add_f32 v11, v26, v27
	v_sub_f32_e32 v10, v22, v14
	v_cmpx_gt_u32_e32 0x4b, v4
	s_cbranch_execz .LBB0_13
; %bb.12:
	v_dual_mul_f32 v2, 0xbeae86e6, v2 :: v_dual_mul_f32 v3, 0xbeae86e6, v3
	v_dual_mul_f32 v25, 0xbee1c552, v25 :: v_dual_mul_f32 v20, 0xbee1c552, v20
	s_delay_alu instid0(VALU_DEP_2) | instskip(NEXT) | instid1(VALU_DEP_3)
	v_dual_add_f32 v21, v24, v21 :: v_dual_add_f32 v2, v18, v2
	v_add_f32_e32 v3, v17, v3
	v_add_f32_e32 v5, v15, v5
	s_delay_alu instid0(VALU_DEP_3) | instskip(SKIP_1) | instid1(VALU_DEP_4)
	v_add_f32_e32 v15, v21, v23
	v_mad_u32_u24 v21, v4, 48, v16
	v_add_f32_e32 v20, v20, v3
	s_delay_alu instid0(VALU_DEP_4) | instskip(SKIP_3) | instid1(VALU_DEP_4)
	v_add_f32_e32 v5, v5, v19
	v_add_f32_e32 v19, v25, v2
	v_sub_f32_e32 v3, v27, v26
	v_add_f32_e32 v2, v14, v22
	v_sub_f32_e32 v14, v5, v20
	s_delay_alu instid0(VALU_DEP_4)
	v_dual_sub_f32 v18, v15, v19 :: v_dual_add_f32 v17, v5, v20
	v_add_f32_e32 v15, v19, v15
	ds_store_2addr_b64 v21, v[0:1], v[17:18] offset1:1
	ds_store_2addr_b64 v21, v[2:3], v[8:9] offset0:2 offset1:3
	ds_store_2addr_b64 v21, v[12:13], v[10:11] offset0:4 offset1:5
	ds_store_b64 v21, v[14:15] offset:48
.LBB0_13:
	s_or_b32 exec_lo, exec_lo, s1
	s_waitcnt lgkmcnt(0)
	s_barrier
	buffer_gl0_inv
	ds_load_2addr_b64 v[0:3], v16 offset1:175
	ds_load_b64 v[14:15], v16 offset:2800
	v_cmp_gt_u32_e64 s0, 0x46, v4
	s_delay_alu instid0(VALU_DEP_1)
	s_and_saveexec_b32 s1, s0
	s_cbranch_execz .LBB0_15
; %bb.14:
	v_add_nc_u32_e32 v5, 0x200, v16
	ds_load_2addr_b64 v[17:20], v5 offset0:41 offset1:216
	ds_load_b64 v[10:11], v16 offset:3640
	s_waitcnt lgkmcnt(1)
	v_dual_mov_b32 v8, v17 :: v_dual_mov_b32 v9, v18
	v_dual_mov_b32 v12, v19 :: v_dual_mov_b32 v13, v20
.LBB0_15:
	s_or_b32 exec_lo, exec_lo, s1
	v_and_b32_e32 v5, 0xff, v4
	s_delay_alu instid0(VALU_DEP_1) | instskip(NEXT) | instid1(VALU_DEP_1)
	v_mul_lo_u16 v17, v5, 37
	v_lshrrev_b16 v17, 8, v17
	s_delay_alu instid0(VALU_DEP_1) | instskip(NEXT) | instid1(VALU_DEP_1)
	v_sub_nc_u16 v18, v4, v17
	v_lshrrev_b16 v18, 1, v18
	s_delay_alu instid0(VALU_DEP_1) | instskip(NEXT) | instid1(VALU_DEP_1)
	v_and_b32_e32 v18, 0x7f, v18
	v_add_nc_u16 v17, v18, v17
	s_delay_alu instid0(VALU_DEP_1) | instskip(NEXT) | instid1(VALU_DEP_1)
	v_lshrrev_b16 v21, 2, v17
	v_mul_lo_u16 v17, v21, 7
	s_delay_alu instid0(VALU_DEP_1) | instskip(NEXT) | instid1(VALU_DEP_1)
	v_sub_nc_u16 v17, v4, v17
	v_and_b32_e32 v22, 0xff, v17
	s_delay_alu instid0(VALU_DEP_1)
	v_lshlrev_b32_e32 v17, 4, v22
	global_load_b128 v[17:20], v17, s[4:5]
	v_and_b32_e32 v21, 0xffff, v21
	s_waitcnt vmcnt(0) lgkmcnt(0)
	s_barrier
	buffer_gl0_inv
	v_mul_f32_e32 v23, v18, v3
	v_mul_f32_e32 v18, v18, v2
	;; [unrolled: 1-line block ×3, first 2 shown]
	v_mul_u32_u24_e32 v21, 0xa8, v21
	s_delay_alu instid0(VALU_DEP_4) | instskip(NEXT) | instid1(VALU_DEP_4)
	v_fmac_f32_e32 v23, v17, v2
	v_fma_f32 v2, v17, v3, -v18
	v_mul_f32_e32 v20, v20, v14
	s_delay_alu instid0(VALU_DEP_1) | instskip(NEXT) | instid1(VALU_DEP_3)
	v_fma_f32 v3, v19, v15, -v20
	v_add_f32_e32 v20, v2, v1
	v_fmac_f32_e32 v24, v19, v14
	s_delay_alu instid0(VALU_DEP_3) | instskip(SKIP_1) | instid1(VALU_DEP_4)
	v_add_f32_e32 v18, v2, v3
	v_sub_f32_e32 v19, v2, v3
	v_dual_add_f32 v3, v20, v3 :: v_dual_lshlrev_b32 v22, 3, v22
	s_delay_alu instid0(VALU_DEP_4) | instskip(SKIP_2) | instid1(VALU_DEP_4)
	v_add_f32_e32 v14, v23, v24
	v_add_f32_e32 v15, v23, v0
	v_fma_f32 v1, -0.5, v18, v1
	v_add3_u32 v17, 0, v21, v22
	v_sub_f32_e32 v21, v23, v24
	v_fma_f32 v0, -0.5, v14, v0
	s_delay_alu instid0(VALU_DEP_2) | instskip(NEXT) | instid1(VALU_DEP_2)
	v_dual_add_f32 v2, v15, v24 :: v_dual_fmamk_f32 v15, v21, 0x3f5db3d7, v1
	v_dual_fmac_f32 v1, 0xbf5db3d7, v21 :: v_dual_fmamk_f32 v14, v19, 0xbf5db3d7, v0
	v_fmac_f32_e32 v0, 0x3f5db3d7, v19
	ds_store_2addr_b64 v17, v[2:3], v[14:15] offset1:7
	ds_store_b64 v17, v[0:1] offset:112
	s_and_saveexec_b32 s1, s0
	s_cbranch_execz .LBB0_17
; %bb.16:
	v_add_nc_u16 v0, v4, 0x69
	s_delay_alu instid0(VALU_DEP_1) | instskip(NEXT) | instid1(VALU_DEP_1)
	v_and_b32_e32 v1, 0xff, v0
	v_mul_lo_u16 v1, v1, 37
	s_delay_alu instid0(VALU_DEP_1) | instskip(NEXT) | instid1(VALU_DEP_1)
	v_lshrrev_b16 v1, 8, v1
	v_sub_nc_u16 v2, v0, v1
	s_delay_alu instid0(VALU_DEP_1) | instskip(NEXT) | instid1(VALU_DEP_1)
	v_lshrrev_b16 v2, 1, v2
	v_and_b32_e32 v2, 0x7f, v2
	s_delay_alu instid0(VALU_DEP_1) | instskip(NEXT) | instid1(VALU_DEP_1)
	v_add_nc_u16 v1, v2, v1
	v_lshrrev_b16 v14, 2, v1
	s_delay_alu instid0(VALU_DEP_1) | instskip(SKIP_1) | instid1(VALU_DEP_2)
	v_mul_lo_u16 v1, v14, 7
	v_and_b32_e32 v14, 0xffff, v14
	v_sub_nc_u16 v0, v0, v1
	s_delay_alu instid0(VALU_DEP_1) | instskip(NEXT) | instid1(VALU_DEP_1)
	v_and_b32_e32 v15, 0xff, v0
	v_lshlrev_b32_e32 v0, 4, v15
	global_load_b128 v[0:3], v0, s[4:5]
	s_waitcnt vmcnt(0)
	v_mul_f32_e32 v17, v13, v1
	v_dual_mul_f32 v1, v12, v1 :: v_dual_mul_f32 v18, v11, v3
	v_mul_f32_e32 v3, v10, v3
	s_delay_alu instid0(VALU_DEP_3) | instskip(NEXT) | instid1(VALU_DEP_3)
	v_fmac_f32_e32 v17, v12, v0
	v_fma_f32 v0, v13, v0, -v1
	s_delay_alu instid0(VALU_DEP_4)
	v_fmac_f32_e32 v18, v10, v2
	v_lshlrev_b32_e32 v10, 3, v15
	v_fma_f32 v2, v11, v2, -v3
	v_mul_u32_u24_e32 v3, 0xa8, v14
	v_add_f32_e32 v14, v9, v0
	v_dual_add_f32 v12, v17, v18 :: v_dual_add_f32 v15, v8, v17
	s_delay_alu instid0(VALU_DEP_4) | instskip(SKIP_2) | instid1(VALU_DEP_4)
	v_add_f32_e32 v1, v0, v2
	v_sub_f32_e32 v13, v0, v2
	v_add3_u32 v10, 0, v3, v10
	v_fma_f32 v0, -0.5, v12, v8
	v_sub_f32_e32 v11, v17, v18
	v_fma_f32 v1, -0.5, v1, v9
	s_delay_alu instid0(VALU_DEP_3) | instskip(SKIP_2) | instid1(VALU_DEP_4)
	v_dual_add_f32 v3, v14, v2 :: v_dual_fmamk_f32 v8, v13, 0xbf5db3d7, v0
	v_fmac_f32_e32 v0, 0x3f5db3d7, v13
	v_add_f32_e32 v2, v15, v18
	v_fmamk_f32 v9, v11, 0x3f5db3d7, v1
	v_fmac_f32_e32 v1, 0xbf5db3d7, v11
	ds_store_2addr_b64 v10, v[2:3], v[8:9] offset1:7
	ds_store_b64 v10, v[0:1] offset:112
.LBB0_17:
	s_or_b32 exec_lo, exec_lo, s1
	v_mul_lo_u16 v0, 0x87, v5
	s_waitcnt lgkmcnt(0)
	s_barrier
	buffer_gl0_inv
	v_lshrrev_b16 v0, 8, v0
	s_delay_alu instid0(VALU_DEP_1) | instskip(NEXT) | instid1(VALU_DEP_1)
	v_sub_nc_u16 v1, v4, v0
	v_lshrrev_b16 v1, 1, v1
	s_delay_alu instid0(VALU_DEP_1) | instskip(NEXT) | instid1(VALU_DEP_1)
	v_and_b32_e32 v1, 0x7f, v1
	v_add_nc_u16 v0, v1, v0
	v_mov_b32_e32 v1, 0
	s_delay_alu instid0(VALU_DEP_2) | instskip(NEXT) | instid1(VALU_DEP_1)
	v_lshrrev_b16 v0, 4, v0
	v_and_b32_e32 v2, 15, v0
	s_delay_alu instid0(VALU_DEP_1) | instskip(NEXT) | instid1(VALU_DEP_1)
	v_mul_lo_u16 v0, v2, 21
	v_sub_nc_u16 v0, v4, v0
	s_delay_alu instid0(VALU_DEP_1) | instskip(NEXT) | instid1(VALU_DEP_1)
	v_and_b32_e32 v5, 0xff, v0
	v_lshlrev_b32_e32 v0, 5, v5
	s_clause 0x1
	global_load_b128 v[8:11], v0, s[4:5] offset:112
	global_load_b128 v[12:15], v0, s[4:5] offset:128
	ds_load_2addr_b64 v[17:20], v16 offset0:105 offset1:210
	v_add_nc_u32_e32 v27, 0x800, v16
	v_lshlrev_b32_e32 v0, 2, v4
	v_and_b32_e32 v28, 0xffff, v2
	ds_load_2addr_b32 v[25:26], v16 offset1:1
	ds_load_2addr_b64 v[21:24], v27 offset0:59 offset1:164
	v_lshlrev_b64 v[2:3], 3, v[0:1]
	v_mul_u32_u24_e32 v0, 0x348, v28
	s_waitcnt vmcnt(0) lgkmcnt(0)
	s_barrier
	buffer_gl0_inv
	v_add_co_u32 v2, s0, s4, v2
	s_delay_alu instid0(VALU_DEP_1) | instskip(SKIP_3) | instid1(VALU_DEP_3)
	v_add_co_ci_u32_e64 v3, s0, s5, v3, s0
	v_mul_f32_e32 v28, v11, v20
	v_mul_f32_e32 v11, v11, v19
	;; [unrolled: 1-line block ×3, first 2 shown]
	v_dual_fmac_f32 v28, v10, v19 :: v_dual_lshlrev_b32 v5, 3, v5
	s_delay_alu instid0(VALU_DEP_2) | instskip(NEXT) | instid1(VALU_DEP_2)
	v_fmac_f32_e32 v30, v14, v23
	v_add3_u32 v0, 0, v0, v5
	v_mul_f32_e32 v5, v9, v18
	v_mul_f32_e32 v9, v9, v17
	s_delay_alu instid0(VALU_DEP_2) | instskip(SKIP_1) | instid1(VALU_DEP_3)
	v_fmac_f32_e32 v5, v8, v17
	v_mul_f32_e32 v29, v13, v22
	v_fma_f32 v8, v8, v18, -v9
	v_mul_f32_e32 v13, v13, v21
	v_fma_f32 v9, v10, v20, -v11
	s_delay_alu instid0(VALU_DEP_2) | instskip(NEXT) | instid1(VALU_DEP_2)
	v_fma_f32 v11, v12, v22, -v13
	v_dual_add_f32 v22, v26, v8 :: v_dual_sub_f32 v31, v8, v9
	v_sub_f32_e32 v34, v9, v8
	s_delay_alu instid0(VALU_DEP_3) | instskip(SKIP_2) | instid1(VALU_DEP_2)
	v_sub_f32_e32 v18, v9, v11
	v_dual_mul_f32 v15, v15, v23 :: v_dual_add_f32 v10, v5, v25
	v_dual_sub_f32 v20, v28, v5 :: v_dual_sub_f32 v13, v5, v28
	v_fma_f32 v15, v14, v24, -v15
	s_delay_alu instid0(VALU_DEP_3) | instskip(NEXT) | instid1(VALU_DEP_2)
	v_dual_fmac_f32 v29, v12, v21 :: v_dual_add_f32 v10, v10, v28
	v_sub_f32_e32 v32, v15, v11
	s_delay_alu instid0(VALU_DEP_2) | instskip(SKIP_4) | instid1(VALU_DEP_4)
	v_add_f32_e32 v12, v28, v29
	v_dual_sub_f32 v17, v8, v15 :: v_dual_sub_f32 v14, v30, v29
	v_dual_add_f32 v19, v5, v30 :: v_dual_sub_f32 v24, v28, v29
	v_sub_f32_e32 v21, v29, v30
	v_add_f32_e32 v23, v9, v11
	v_dual_add_f32 v33, v8, v15 :: v_dual_add_f32 v28, v13, v14
	v_sub_f32_e32 v5, v5, v30
	v_fma_f32 v8, -0.5, v12, v25
	v_fma_f32 v25, -0.5, v19, v25
	v_add_f32_e32 v19, v20, v21
	v_dual_add_f32 v13, v22, v9 :: v_dual_add_f32 v20, v31, v32
	v_fma_f32 v9, -0.5, v23, v26
	v_dual_sub_f32 v35, v11, v15 :: v_dual_add_f32 v14, v10, v29
	v_fmac_f32_e32 v26, -0.5, v33
	v_fmamk_f32 v10, v17, 0xbf737871, v8
	v_fmamk_f32 v12, v18, 0x3f737871, v25
	v_dual_fmac_f32 v25, 0xbf737871, v18 :: v_dual_add_f32 v22, v13, v11
	v_dual_fmamk_f32 v11, v5, 0x3f737871, v9 :: v_dual_add_f32 v14, v14, v30
	v_dual_add_f32 v21, v34, v35 :: v_dual_fmac_f32 v8, 0x3f737871, v17
	v_fmamk_f32 v13, v24, 0xbf737871, v26
	v_fmac_f32_e32 v26, 0x3f737871, v24
	v_fmac_f32_e32 v9, 0xbf737871, v5
	v_dual_fmac_f32 v10, 0xbf167918, v18 :: v_dual_add_f32 v15, v22, v15
	v_fmac_f32_e32 v12, 0xbf167918, v17
	v_dual_fmac_f32 v11, 0x3f167918, v24 :: v_dual_fmac_f32 v8, 0x3f167918, v18
	v_fmac_f32_e32 v25, 0x3f167918, v17
	v_fmac_f32_e32 v13, 0x3f167918, v5
	v_dual_fmac_f32 v26, 0xbf167918, v5 :: v_dual_fmac_f32 v9, 0xbf167918, v24
	s_delay_alu instid0(VALU_DEP_3) | instskip(SKIP_1) | instid1(VALU_DEP_4)
	v_dual_fmac_f32 v10, 0x3e9e377a, v28 :: v_dual_fmac_f32 v25, 0x3e9e377a, v19
	v_dual_fmac_f32 v12, 0x3e9e377a, v19 :: v_dual_fmac_f32 v11, 0x3e9e377a, v20
	;; [unrolled: 1-line block ×3, first 2 shown]
	s_delay_alu instid0(VALU_DEP_4)
	v_dual_fmac_f32 v26, 0x3e9e377a, v21 :: v_dual_fmac_f32 v9, 0x3e9e377a, v20
	ds_store_2addr_b64 v0, v[14:15], v[10:11] offset1:21
	ds_store_2addr_b64 v0, v[12:13], v[25:26] offset0:42 offset1:63
	ds_store_b64 v0, v[8:9] offset:672
	s_waitcnt lgkmcnt(0)
	s_barrier
	buffer_gl0_inv
	s_clause 0x1
	global_load_b128 v[8:11], v[2:3], off offset:784
	global_load_b128 v[12:15], v[2:3], off offset:800
	ds_load_2addr_b64 v[17:20], v16 offset0:105 offset1:210
	ds_load_2addr_b64 v[21:24], v27 offset0:59 offset1:164
	ds_load_2addr_b32 v[2:3], v16 offset1:1
	v_add_nc_u32_e32 v0, 0x400, v16
	s_waitcnt vmcnt(0) lgkmcnt(0)
	s_barrier
	buffer_gl0_inv
	v_mul_f32_e32 v5, v9, v18
	v_mul_f32_e32 v9, v9, v17
	v_dual_mul_f32 v25, v11, v20 :: v_dual_mul_f32 v26, v13, v22
	s_delay_alu instid0(VALU_DEP_3) | instskip(NEXT) | instid1(VALU_DEP_3)
	v_fmac_f32_e32 v5, v8, v17
	v_fma_f32 v8, v8, v18, -v9
	s_delay_alu instid0(VALU_DEP_3) | instskip(NEXT) | instid1(VALU_DEP_4)
	v_fmac_f32_e32 v25, v10, v19
	v_dual_mul_f32 v11, v11, v19 :: v_dual_fmac_f32 v26, v12, v21
	s_delay_alu instid0(VALU_DEP_1) | instskip(NEXT) | instid1(VALU_DEP_1)
	v_fma_f32 v9, v10, v20, -v11
	v_dual_mul_f32 v27, v15, v24 :: v_dual_sub_f32 v28, v8, v9
	v_mul_f32_e32 v15, v15, v23
	s_delay_alu instid0(VALU_DEP_2) | instskip(SKIP_1) | instid1(VALU_DEP_3)
	v_fmac_f32_e32 v27, v14, v23
	v_mul_f32_e32 v13, v13, v21
	v_fma_f32 v15, v14, v24, -v15
	s_delay_alu instid0(VALU_DEP_3) | instskip(NEXT) | instid1(VALU_DEP_3)
	v_sub_f32_e32 v14, v27, v26
	v_fma_f32 v11, v12, v22, -v13
	v_add_f32_e32 v12, v25, v26
	v_add_f32_e32 v22, v3, v8
	v_dual_add_f32 v10, v5, v2 :: v_dual_sub_f32 v17, v8, v15
	v_dual_sub_f32 v13, v5, v25 :: v_dual_add_f32 v30, v8, v15
	v_dual_sub_f32 v31, v9, v8 :: v_dual_sub_f32 v32, v11, v15
	s_delay_alu instid0(VALU_DEP_3)
	v_dual_add_f32 v10, v10, v25 :: v_dual_add_f32 v19, v5, v27
	v_fma_f32 v8, -0.5, v12, v2
	v_sub_f32_e32 v18, v9, v11
	v_dual_sub_f32 v20, v25, v5 :: v_dual_sub_f32 v21, v26, v27
	v_add_f32_e32 v23, v9, v11
	v_sub_f32_e32 v24, v25, v26
	v_add_f32_e32 v25, v13, v14
	v_add_f32_e32 v14, v10, v26
	v_fma_f32 v2, -0.5, v19, v2
	v_dual_sub_f32 v29, v15, v11 :: v_dual_fmamk_f32 v10, v17, 0xbf737871, v8
	v_add_f32_e32 v13, v22, v9
	v_fmac_f32_e32 v8, 0x3f737871, v17
	v_fma_f32 v9, -0.5, v23, v3
	v_fmamk_f32 v12, v18, 0x3f737871, v2
	v_dual_fmac_f32 v10, 0xbf167918, v18 :: v_dual_add_f32 v19, v20, v21
	v_add_f32_e32 v22, v13, v11
	v_dual_add_f32 v20, v28, v29 :: v_dual_sub_f32 v5, v5, v27
	s_delay_alu instid0(VALU_DEP_4) | instskip(SKIP_2) | instid1(VALU_DEP_4)
	v_dual_fmac_f32 v3, -0.5, v30 :: v_dual_fmac_f32 v12, 0xbf167918, v17
	v_dual_fmac_f32 v2, 0xbf737871, v18 :: v_dual_add_f32 v21, v31, v32
	v_fmac_f32_e32 v8, 0x3f167918, v18
	v_fmamk_f32 v11, v5, 0x3f737871, v9
	s_delay_alu instid0(VALU_DEP_4)
	v_fmamk_f32 v13, v24, 0xbf737871, v3
	v_fmac_f32_e32 v3, 0x3f737871, v24
	v_fmac_f32_e32 v9, 0xbf737871, v5
	v_dual_fmac_f32 v2, 0x3f167918, v17 :: v_dual_add_f32 v15, v22, v15
	v_fmac_f32_e32 v11, 0x3f167918, v24
	v_fmac_f32_e32 v13, 0x3f167918, v5
	;; [unrolled: 1-line block ×3, first 2 shown]
	v_dual_fmac_f32 v9, 0xbf167918, v24 :: v_dual_add_f32 v14, v14, v27
	s_delay_alu instid0(VALU_DEP_4) | instskip(NEXT) | instid1(VALU_DEP_4)
	v_dual_fmac_f32 v10, 0x3e9e377a, v25 :: v_dual_fmac_f32 v11, 0x3e9e377a, v20
	v_dual_fmac_f32 v12, 0x3e9e377a, v19 :: v_dual_fmac_f32 v13, 0x3e9e377a, v21
	s_delay_alu instid0(VALU_DEP_4) | instskip(NEXT) | instid1(VALU_DEP_4)
	v_dual_fmac_f32 v2, 0x3e9e377a, v19 :: v_dual_fmac_f32 v3, 0x3e9e377a, v21
	v_dual_fmac_f32 v8, 0x3e9e377a, v25 :: v_dual_fmac_f32 v9, 0x3e9e377a, v20
	ds_store_2addr_b64 v16, v[14:15], v[10:11] offset1:105
	ds_store_2addr_b64 v0, v[12:13], v[2:3] offset0:82 offset1:187
	ds_store_b64 v16, v[8:9] offset:3360
	s_waitcnt lgkmcnt(0)
	s_barrier
	buffer_gl0_inv
	s_and_saveexec_b32 s0, vcc_lo
	s_cbranch_execz .LBB0_19
; %bb.18:
	ds_load_2addr_b64 v[8:11], v16 offset1:105
	v_mov_b32_e32 v5, v1
	ds_load_2addr_b64 v[0:3], v0 offset0:82 offset1:187
	ds_load_b64 v[12:13], v16 offset:3360
	v_add_co_u32 v6, vcc_lo, s8, v6
	v_add_co_ci_u32_e32 v7, vcc_lo, s9, v7, vcc_lo
	v_lshlrev_b64 v[4:5], 3, v[4:5]
	s_delay_alu instid0(VALU_DEP_1) | instskip(NEXT) | instid1(VALU_DEP_2)
	v_add_co_u32 v4, vcc_lo, v6, v4
	v_add_co_ci_u32_e32 v5, vcc_lo, v7, v5, vcc_lo
	s_waitcnt lgkmcnt(2)
	s_clause 0x1
	global_store_b64 v[4:5], v[8:9], off
	global_store_b64 v[4:5], v[10:11], off offset:840
	s_waitcnt lgkmcnt(1)
	s_clause 0x1
	global_store_b64 v[4:5], v[0:1], off offset:1680
	global_store_b64 v[4:5], v[2:3], off offset:2520
	s_waitcnt lgkmcnt(0)
	global_store_b64 v[4:5], v[12:13], off offset:3360
.LBB0_19:
	s_nop 0
	s_sendmsg sendmsg(MSG_DEALLOC_VGPRS)
	s_endpgm
	.section	.rodata,"a",@progbits
	.p2align	6, 0x0
	.amdhsa_kernel fft_rtc_back_len525_factors_7_3_5_5_wgs_105_tpt_105_sp_ip_CI_unitstride_sbrr_dirReg
		.amdhsa_group_segment_fixed_size 0
		.amdhsa_private_segment_fixed_size 0
		.amdhsa_kernarg_size 88
		.amdhsa_user_sgpr_count 15
		.amdhsa_user_sgpr_dispatch_ptr 0
		.amdhsa_user_sgpr_queue_ptr 0
		.amdhsa_user_sgpr_kernarg_segment_ptr 1
		.amdhsa_user_sgpr_dispatch_id 0
		.amdhsa_user_sgpr_private_segment_size 0
		.amdhsa_wavefront_size32 1
		.amdhsa_uses_dynamic_stack 0
		.amdhsa_enable_private_segment 0
		.amdhsa_system_sgpr_workgroup_id_x 1
		.amdhsa_system_sgpr_workgroup_id_y 0
		.amdhsa_system_sgpr_workgroup_id_z 0
		.amdhsa_system_sgpr_workgroup_info 0
		.amdhsa_system_vgpr_workitem_id 0
		.amdhsa_next_free_vgpr 36
		.amdhsa_next_free_sgpr 21
		.amdhsa_reserve_vcc 1
		.amdhsa_float_round_mode_32 0
		.amdhsa_float_round_mode_16_64 0
		.amdhsa_float_denorm_mode_32 3
		.amdhsa_float_denorm_mode_16_64 3
		.amdhsa_dx10_clamp 1
		.amdhsa_ieee_mode 1
		.amdhsa_fp16_overflow 0
		.amdhsa_workgroup_processor_mode 1
		.amdhsa_memory_ordered 1
		.amdhsa_forward_progress 0
		.amdhsa_shared_vgpr_count 0
		.amdhsa_exception_fp_ieee_invalid_op 0
		.amdhsa_exception_fp_denorm_src 0
		.amdhsa_exception_fp_ieee_div_zero 0
		.amdhsa_exception_fp_ieee_overflow 0
		.amdhsa_exception_fp_ieee_underflow 0
		.amdhsa_exception_fp_ieee_inexact 0
		.amdhsa_exception_int_div_zero 0
	.end_amdhsa_kernel
	.text
.Lfunc_end0:
	.size	fft_rtc_back_len525_factors_7_3_5_5_wgs_105_tpt_105_sp_ip_CI_unitstride_sbrr_dirReg, .Lfunc_end0-fft_rtc_back_len525_factors_7_3_5_5_wgs_105_tpt_105_sp_ip_CI_unitstride_sbrr_dirReg
                                        ; -- End function
	.section	.AMDGPU.csdata,"",@progbits
; Kernel info:
; codeLenInByte = 4308
; NumSgprs: 23
; NumVgprs: 36
; ScratchSize: 0
; MemoryBound: 0
; FloatMode: 240
; IeeeMode: 1
; LDSByteSize: 0 bytes/workgroup (compile time only)
; SGPRBlocks: 2
; VGPRBlocks: 4
; NumSGPRsForWavesPerEU: 23
; NumVGPRsForWavesPerEU: 36
; Occupancy: 16
; WaveLimiterHint : 1
; COMPUTE_PGM_RSRC2:SCRATCH_EN: 0
; COMPUTE_PGM_RSRC2:USER_SGPR: 15
; COMPUTE_PGM_RSRC2:TRAP_HANDLER: 0
; COMPUTE_PGM_RSRC2:TGID_X_EN: 1
; COMPUTE_PGM_RSRC2:TGID_Y_EN: 0
; COMPUTE_PGM_RSRC2:TGID_Z_EN: 0
; COMPUTE_PGM_RSRC2:TIDIG_COMP_CNT: 0
	.text
	.p2alignl 7, 3214868480
	.fill 96, 4, 3214868480
	.type	__hip_cuid_71414d38ab9aa8c4,@object ; @__hip_cuid_71414d38ab9aa8c4
	.section	.bss,"aw",@nobits
	.globl	__hip_cuid_71414d38ab9aa8c4
__hip_cuid_71414d38ab9aa8c4:
	.byte	0                               ; 0x0
	.size	__hip_cuid_71414d38ab9aa8c4, 1

	.ident	"AMD clang version 19.0.0git (https://github.com/RadeonOpenCompute/llvm-project roc-6.4.0 25133 c7fe45cf4b819c5991fe208aaa96edf142730f1d)"
	.section	".note.GNU-stack","",@progbits
	.addrsig
	.addrsig_sym __hip_cuid_71414d38ab9aa8c4
	.amdgpu_metadata
---
amdhsa.kernels:
  - .args:
      - .actual_access:  read_only
        .address_space:  global
        .offset:         0
        .size:           8
        .value_kind:     global_buffer
      - .offset:         8
        .size:           8
        .value_kind:     by_value
      - .actual_access:  read_only
        .address_space:  global
        .offset:         16
        .size:           8
        .value_kind:     global_buffer
      - .actual_access:  read_only
        .address_space:  global
        .offset:         24
        .size:           8
        .value_kind:     global_buffer
      - .offset:         32
        .size:           8
        .value_kind:     by_value
      - .actual_access:  read_only
        .address_space:  global
        .offset:         40
        .size:           8
        .value_kind:     global_buffer
      - .actual_access:  read_only
        .address_space:  global
        .offset:         48
        .size:           8
        .value_kind:     global_buffer
      - .offset:         56
        .size:           4
        .value_kind:     by_value
      - .actual_access:  read_only
        .address_space:  global
        .offset:         64
        .size:           8
        .value_kind:     global_buffer
      - .actual_access:  read_only
        .address_space:  global
        .offset:         72
        .size:           8
        .value_kind:     global_buffer
      - .address_space:  global
        .offset:         80
        .size:           8
        .value_kind:     global_buffer
    .group_segment_fixed_size: 0
    .kernarg_segment_align: 8
    .kernarg_segment_size: 88
    .language:       OpenCL C
    .language_version:
      - 2
      - 0
    .max_flat_workgroup_size: 105
    .name:           fft_rtc_back_len525_factors_7_3_5_5_wgs_105_tpt_105_sp_ip_CI_unitstride_sbrr_dirReg
    .private_segment_fixed_size: 0
    .sgpr_count:     23
    .sgpr_spill_count: 0
    .symbol:         fft_rtc_back_len525_factors_7_3_5_5_wgs_105_tpt_105_sp_ip_CI_unitstride_sbrr_dirReg.kd
    .uniform_work_group_size: 1
    .uses_dynamic_stack: false
    .vgpr_count:     36
    .vgpr_spill_count: 0
    .wavefront_size: 32
    .workgroup_processor_mode: 1
amdhsa.target:   amdgcn-amd-amdhsa--gfx1100
amdhsa.version:
  - 1
  - 2
...

	.end_amdgpu_metadata
